;; amdgpu-corpus repo=ROCm/rocFFT kind=compiled arch=gfx906 opt=O3
	.text
	.amdgcn_target "amdgcn-amd-amdhsa--gfx906"
	.amdhsa_code_object_version 6
	.protected	fft_rtc_back_len90_factors_3_3_10_wgs_63_tpt_9_halfLds_sp_op_CI_CI_unitstride_sbrr_R2C_dirReg ; -- Begin function fft_rtc_back_len90_factors_3_3_10_wgs_63_tpt_9_halfLds_sp_op_CI_CI_unitstride_sbrr_R2C_dirReg
	.globl	fft_rtc_back_len90_factors_3_3_10_wgs_63_tpt_9_halfLds_sp_op_CI_CI_unitstride_sbrr_R2C_dirReg
	.p2align	8
	.type	fft_rtc_back_len90_factors_3_3_10_wgs_63_tpt_9_halfLds_sp_op_CI_CI_unitstride_sbrr_R2C_dirReg,@function
fft_rtc_back_len90_factors_3_3_10_wgs_63_tpt_9_halfLds_sp_op_CI_CI_unitstride_sbrr_R2C_dirReg: ; @fft_rtc_back_len90_factors_3_3_10_wgs_63_tpt_9_halfLds_sp_op_CI_CI_unitstride_sbrr_R2C_dirReg
; %bb.0:
	s_load_dwordx4 s[8:11], s[4:5], 0x58
	s_load_dwordx4 s[12:15], s[4:5], 0x0
	;; [unrolled: 1-line block ×3, first 2 shown]
	v_mul_u32_u24_e32 v1, 0x1c72, v0
	v_lshrrev_b32_e32 v1, 16, v1
	v_mad_u64_u32 v[3:4], s[0:1], s6, 7, v[1:2]
	v_mov_b32_e32 v5, 0
	v_mov_b32_e32 v1, 0
	;; [unrolled: 1-line block ×3, first 2 shown]
	s_waitcnt lgkmcnt(0)
	v_cmp_lt_u64_e64 s[0:1], s[14:15], 2
	v_mov_b32_e32 v2, 0
	v_mov_b32_e32 v15, v2
	;; [unrolled: 1-line block ×3, first 2 shown]
	s_and_b64 vcc, exec, s[0:1]
	v_mov_b32_e32 v14, v1
	v_mov_b32_e32 v16, v3
	s_cbranch_vccnz .LBB0_8
; %bb.1:
	s_load_dwordx2 s[0:1], s[4:5], 0x10
	s_add_u32 s2, s18, 8
	s_addc_u32 s3, s19, 0
	s_add_u32 s6, s16, 8
	v_mov_b32_e32 v1, 0
	s_addc_u32 s7, s17, 0
	v_mov_b32_e32 v2, 0
	s_waitcnt lgkmcnt(0)
	s_add_u32 s20, s0, 8
	v_mov_b32_e32 v15, v2
	v_mov_b32_e32 v8, v4
	s_addc_u32 s21, s1, 0
	s_mov_b64 s[22:23], 1
	v_mov_b32_e32 v14, v1
	v_mov_b32_e32 v7, v3
.LBB0_2:                                ; =>This Inner Loop Header: Depth=1
	s_load_dwordx2 s[24:25], s[20:21], 0x0
                                        ; implicit-def: $vgpr16_vgpr17
	s_waitcnt lgkmcnt(0)
	v_or_b32_e32 v6, s25, v8
	v_cmp_ne_u64_e32 vcc, 0, v[5:6]
	s_and_saveexec_b64 s[0:1], vcc
	s_xor_b64 s[26:27], exec, s[0:1]
	s_cbranch_execz .LBB0_4
; %bb.3:                                ;   in Loop: Header=BB0_2 Depth=1
	v_cvt_f32_u32_e32 v4, s24
	v_cvt_f32_u32_e32 v6, s25
	s_sub_u32 s0, 0, s24
	s_subb_u32 s1, 0, s25
	v_mac_f32_e32 v4, 0x4f800000, v6
	v_rcp_f32_e32 v4, v4
	v_mul_f32_e32 v4, 0x5f7ffffc, v4
	v_mul_f32_e32 v6, 0x2f800000, v4
	v_trunc_f32_e32 v6, v6
	v_mac_f32_e32 v4, 0xcf800000, v6
	v_cvt_u32_f32_e32 v6, v6
	v_cvt_u32_f32_e32 v4, v4
	v_mul_lo_u32 v9, s0, v6
	v_mul_hi_u32 v10, s0, v4
	v_mul_lo_u32 v12, s1, v4
	v_mul_lo_u32 v11, s0, v4
	v_add_u32_e32 v9, v10, v9
	v_add_u32_e32 v9, v9, v12
	v_mul_hi_u32 v10, v4, v11
	v_mul_lo_u32 v12, v4, v9
	v_mul_hi_u32 v16, v4, v9
	v_mul_hi_u32 v13, v6, v11
	v_mul_lo_u32 v11, v6, v11
	v_mul_hi_u32 v17, v6, v9
	v_add_co_u32_e32 v10, vcc, v10, v12
	v_addc_co_u32_e32 v12, vcc, 0, v16, vcc
	v_mul_lo_u32 v9, v6, v9
	v_add_co_u32_e32 v10, vcc, v10, v11
	v_addc_co_u32_e32 v10, vcc, v12, v13, vcc
	v_addc_co_u32_e32 v11, vcc, 0, v17, vcc
	v_add_co_u32_e32 v9, vcc, v10, v9
	v_addc_co_u32_e32 v10, vcc, 0, v11, vcc
	v_add_co_u32_e32 v4, vcc, v4, v9
	v_addc_co_u32_e32 v6, vcc, v6, v10, vcc
	v_mul_lo_u32 v9, s0, v6
	v_mul_hi_u32 v10, s0, v4
	v_mul_lo_u32 v11, s1, v4
	v_mul_lo_u32 v12, s0, v4
	v_add_u32_e32 v9, v10, v9
	v_add_u32_e32 v9, v9, v11
	v_mul_lo_u32 v13, v4, v9
	v_mul_hi_u32 v16, v4, v12
	v_mul_hi_u32 v17, v4, v9
	;; [unrolled: 1-line block ×3, first 2 shown]
	v_mul_lo_u32 v12, v6, v12
	v_mul_hi_u32 v10, v6, v9
	v_add_co_u32_e32 v13, vcc, v16, v13
	v_addc_co_u32_e32 v16, vcc, 0, v17, vcc
	v_mul_lo_u32 v9, v6, v9
	v_add_co_u32_e32 v12, vcc, v13, v12
	v_addc_co_u32_e32 v11, vcc, v16, v11, vcc
	v_addc_co_u32_e32 v10, vcc, 0, v10, vcc
	v_add_co_u32_e32 v9, vcc, v11, v9
	v_addc_co_u32_e32 v10, vcc, 0, v10, vcc
	v_add_co_u32_e32 v4, vcc, v4, v9
	v_addc_co_u32_e32 v6, vcc, v6, v10, vcc
	v_mad_u64_u32 v[9:10], s[0:1], v7, v6, 0
	v_mul_hi_u32 v11, v7, v4
	v_add_co_u32_e32 v13, vcc, v11, v9
	v_addc_co_u32_e32 v16, vcc, 0, v10, vcc
	v_mad_u64_u32 v[9:10], s[0:1], v8, v4, 0
	v_mad_u64_u32 v[11:12], s[0:1], v8, v6, 0
	v_add_co_u32_e32 v4, vcc, v13, v9
	v_addc_co_u32_e32 v4, vcc, v16, v10, vcc
	v_addc_co_u32_e32 v6, vcc, 0, v12, vcc
	v_add_co_u32_e32 v4, vcc, v4, v11
	v_addc_co_u32_e32 v6, vcc, 0, v6, vcc
	v_mul_lo_u32 v11, s25, v4
	v_mul_lo_u32 v12, s24, v6
	v_mad_u64_u32 v[9:10], s[0:1], s24, v4, 0
	v_add3_u32 v10, v10, v12, v11
	v_sub_u32_e32 v11, v8, v10
	v_mov_b32_e32 v12, s25
	v_sub_co_u32_e32 v9, vcc, v7, v9
	v_subb_co_u32_e64 v11, s[0:1], v11, v12, vcc
	v_subrev_co_u32_e64 v12, s[0:1], s24, v9
	v_subbrev_co_u32_e64 v11, s[0:1], 0, v11, s[0:1]
	v_cmp_le_u32_e64 s[0:1], s25, v11
	v_cndmask_b32_e64 v13, 0, -1, s[0:1]
	v_cmp_le_u32_e64 s[0:1], s24, v12
	v_cndmask_b32_e64 v12, 0, -1, s[0:1]
	v_cmp_eq_u32_e64 s[0:1], s25, v11
	v_cndmask_b32_e64 v11, v13, v12, s[0:1]
	v_add_co_u32_e64 v12, s[0:1], 2, v4
	v_addc_co_u32_e64 v13, s[0:1], 0, v6, s[0:1]
	v_add_co_u32_e64 v16, s[0:1], 1, v4
	v_addc_co_u32_e64 v17, s[0:1], 0, v6, s[0:1]
	v_subb_co_u32_e32 v10, vcc, v8, v10, vcc
	v_cmp_ne_u32_e64 s[0:1], 0, v11
	v_cmp_le_u32_e32 vcc, s25, v10
	v_cndmask_b32_e64 v11, v17, v13, s[0:1]
	v_cndmask_b32_e64 v13, 0, -1, vcc
	v_cmp_le_u32_e32 vcc, s24, v9
	v_cndmask_b32_e64 v9, 0, -1, vcc
	v_cmp_eq_u32_e32 vcc, s25, v10
	v_cndmask_b32_e32 v9, v13, v9, vcc
	v_cmp_ne_u32_e32 vcc, 0, v9
	v_cndmask_b32_e32 v17, v6, v11, vcc
	v_cndmask_b32_e64 v6, v16, v12, s[0:1]
	v_cndmask_b32_e32 v16, v4, v6, vcc
.LBB0_4:                                ;   in Loop: Header=BB0_2 Depth=1
	s_andn2_saveexec_b64 s[0:1], s[26:27]
	s_cbranch_execz .LBB0_6
; %bb.5:                                ;   in Loop: Header=BB0_2 Depth=1
	v_cvt_f32_u32_e32 v4, s24
	s_sub_i32 s26, 0, s24
	v_mov_b32_e32 v17, v5
	v_rcp_iflag_f32_e32 v4, v4
	v_mul_f32_e32 v4, 0x4f7ffffe, v4
	v_cvt_u32_f32_e32 v4, v4
	v_mul_lo_u32 v6, s26, v4
	v_mul_hi_u32 v6, v4, v6
	v_add_u32_e32 v4, v4, v6
	v_mul_hi_u32 v4, v7, v4
	v_mul_lo_u32 v6, v4, s24
	v_add_u32_e32 v9, 1, v4
	v_sub_u32_e32 v6, v7, v6
	v_subrev_u32_e32 v10, s24, v6
	v_cmp_le_u32_e32 vcc, s24, v6
	v_cndmask_b32_e32 v6, v6, v10, vcc
	v_cndmask_b32_e32 v4, v4, v9, vcc
	v_add_u32_e32 v9, 1, v4
	v_cmp_le_u32_e32 vcc, s24, v6
	v_cndmask_b32_e32 v16, v4, v9, vcc
.LBB0_6:                                ;   in Loop: Header=BB0_2 Depth=1
	s_or_b64 exec, exec, s[0:1]
	v_mul_lo_u32 v4, v17, s24
	v_mul_lo_u32 v6, v16, s25
	v_mad_u64_u32 v[9:10], s[0:1], v16, s24, 0
	s_load_dwordx2 s[0:1], s[6:7], 0x0
	s_load_dwordx2 s[24:25], s[2:3], 0x0
	v_add3_u32 v4, v10, v6, v4
	v_sub_co_u32_e32 v6, vcc, v7, v9
	v_subb_co_u32_e32 v4, vcc, v8, v4, vcc
	s_waitcnt lgkmcnt(0)
	v_mul_lo_u32 v7, s0, v4
	v_mul_lo_u32 v8, s1, v6
	v_mad_u64_u32 v[1:2], s[0:1], s0, v6, v[1:2]
	s_add_u32 s22, s22, 1
	s_addc_u32 s23, s23, 0
	s_add_u32 s2, s2, 8
	v_mul_lo_u32 v4, s24, v4
	v_mul_lo_u32 v9, s25, v6
	v_mad_u64_u32 v[14:15], s[0:1], s24, v6, v[14:15]
	v_add3_u32 v2, v8, v2, v7
	s_addc_u32 s3, s3, 0
	v_mov_b32_e32 v6, s14
	s_add_u32 s6, s6, 8
	v_mov_b32_e32 v7, s15
	s_addc_u32 s7, s7, 0
	v_cmp_ge_u64_e32 vcc, s[22:23], v[6:7]
	s_add_u32 s20, s20, 8
	v_add3_u32 v15, v9, v15, v4
	s_addc_u32 s21, s21, 0
	s_cbranch_vccnz .LBB0_8
; %bb.7:                                ;   in Loop: Header=BB0_2 Depth=1
	v_mov_b32_e32 v7, v16
	v_mov_b32_e32 v8, v17
	s_branch .LBB0_2
.LBB0_8:
	s_mov_b32 s0, 0x24924925
	v_mul_hi_u32 v4, v3, s0
	s_load_dwordx2 s[0:1], s[4:5], 0x28
	s_lshl_b64 s[6:7], s[14:15], 3
	s_add_u32 s2, s18, s6
	v_sub_u32_e32 v5, v3, v4
	v_lshrrev_b32_e32 v5, 1, v5
	v_add_u32_e32 v4, v5, v4
	v_lshrrev_b32_e32 v4, 2, v4
	v_mul_lo_u32 v4, v4, 7
	s_waitcnt lgkmcnt(0)
	v_cmp_gt_u64_e32 vcc, s[0:1], v[16:17]
	v_cmp_le_u64_e64 s[0:1], s[0:1], v[16:17]
	s_addc_u32 s3, s19, s7
	v_sub_u32_e32 v3, v3, v4
                                        ; implicit-def: $vgpr18
                                        ; implicit-def: $vgpr20
                                        ; implicit-def: $vgpr24
                                        ; implicit-def: $vgpr22
	s_and_saveexec_b64 s[4:5], s[0:1]
	s_xor_b64 s[0:1], exec, s[4:5]
; %bb.9:
	s_mov_b32 s4, 0x1c71c71d
	v_mul_hi_u32 v1, v0, s4
	v_mul_u32_u24_e32 v1, 9, v1
	v_sub_u32_e32 v18, v0, v1
	v_add_u32_e32 v20, 9, v18
	v_add_u32_e32 v24, 18, v18
	;; [unrolled: 1-line block ×3, first 2 shown]
                                        ; implicit-def: $vgpr0
                                        ; implicit-def: $vgpr1_vgpr2
; %bb.10:
	s_or_saveexec_b64 s[4:5], s[0:1]
	v_mul_u32_u24_e32 v3, 0x5b, v3
	v_lshlrev_b32_e32 v23, 3, v3
	s_xor_b64 exec, exec, s[4:5]
	s_cbranch_execz .LBB0_12
; %bb.11:
	s_add_u32 s0, s16, s6
	s_addc_u32 s1, s17, s7
	s_load_dwordx2 s[0:1], s[0:1], 0x0
	s_mov_b32 s6, 0x1c71c71d
	v_mul_hi_u32 v5, v0, s6
	s_waitcnt lgkmcnt(0)
	v_mul_lo_u32 v6, s1, v16
	v_mul_lo_u32 v7, s0, v17
	v_mad_u64_u32 v[3:4], s[0:1], s0, v16, 0
	v_mul_u32_u24_e32 v5, 9, v5
	v_sub_u32_e32 v18, v0, v5
	v_add3_u32 v4, v4, v7, v6
	v_lshlrev_b64 v[3:4], 3, v[3:4]
	v_mov_b32_e32 v0, s9
	v_add_co_u32_e64 v3, s[0:1], s8, v3
	v_addc_co_u32_e64 v4, s[0:1], v0, v4, s[0:1]
	v_lshlrev_b64 v[0:1], 3, v[1:2]
	v_lshlrev_b32_e32 v19, 3, v18
	v_add_co_u32_e64 v0, s[0:1], v3, v0
	v_addc_co_u32_e64 v1, s[0:1], v4, v1, s[0:1]
	v_add_co_u32_e64 v0, s[0:1], v0, v19
	v_addc_co_u32_e64 v1, s[0:1], 0, v1, s[0:1]
	global_load_dwordx2 v[2:3], v[0:1], off
	global_load_dwordx2 v[4:5], v[0:1], off offset:72
	global_load_dwordx2 v[6:7], v[0:1], off offset:144
	;; [unrolled: 1-line block ×9, first 2 shown]
	v_add_u32_e32 v20, 9, v18
	v_add_u32_e32 v24, 18, v18
	v_add_u32_e32 v22, 27, v18
	v_add3_u32 v0, 0, v23, v19
	s_waitcnt vmcnt(8)
	ds_write2_b64 v0, v[2:3], v[4:5] offset1:9
	s_waitcnt vmcnt(6)
	ds_write2_b64 v0, v[6:7], v[8:9] offset0:18 offset1:27
	s_waitcnt vmcnt(4)
	ds_write2_b64 v0, v[10:11], v[12:13] offset0:36 offset1:45
	;; [unrolled: 2-line block ×4, first 2 shown]
.LBB0_12:
	s_or_b64 exec, exec, s[4:5]
	v_lshlrev_b32_e32 v19, 3, v18
	v_add3_u32 v21, 0, v19, v23
	s_load_dwordx2 s[2:3], s[2:3], 0x0
	s_waitcnt lgkmcnt(0)
	; wave barrier
	s_waitcnt lgkmcnt(0)
	ds_read2_b64 v[5:8], v21 offset0:9 offset1:18
	ds_read2_b64 v[0:3], v21 offset0:39 offset1:48
	;; [unrolled: 1-line block ×3, first 2 shown]
	v_add_u32_e32 v35, 0, v23
	v_add_u32_e32 v36, v35, v19
	v_cmp_gt_u32_e64 s[0:1], 3, v18
	s_waitcnt lgkmcnt(1)
	v_add_f32_e32 v25, v6, v1
	v_add_f32_e32 v4, v5, v0
	s_waitcnt lgkmcnt(0)
	v_add_f32_e32 v13, v0, v9
	v_sub_f32_e32 v37, v1, v10
	v_add_f32_e32 v38, v1, v10
	v_sub_f32_e32 v39, v0, v9
	v_add_f32_e32 v31, v7, v2
	v_add_f32_e32 v40, v2, v11
	v_sub_f32_e32 v41, v3, v12
	v_add_f32_e32 v32, v8, v3
	;; [unrolled: 3-line block ×3, first 2 shown]
	ds_read2_b64 v[0:3], v21 offset0:27 offset1:30
	ds_read_b64 v[29:30], v36
	ds_read2_b64 v[25:28], v21 offset0:57 offset1:60
	v_add_f32_e32 v9, v4, v9
	v_add_f32_e32 v11, v31, v11
	;; [unrolled: 1-line block ×3, first 2 shown]
	s_waitcnt lgkmcnt(1)
	v_add_f32_e32 v4, v29, v2
	s_waitcnt lgkmcnt(0)
	v_add_f32_e32 v33, v2, v27
	v_fma_f32 v29, -0.5, v33, v29
	v_add_f32_e32 v33, v4, v27
	v_add_f32_e32 v4, v30, v3
	;; [unrolled: 1-line block ×4, first 2 shown]
	v_fmac_f32_e32 v30, -0.5, v4
	v_sub_f32_e32 v28, v3, v28
	v_mov_b32_e32 v3, v29
	v_mov_b32_e32 v4, v30
	v_sub_f32_e32 v2, v2, v27
	ds_read_b64 v[31:32], v21 offset:696
	v_fmac_f32_e32 v3, 0xbf5db3d7, v28
	v_fmac_f32_e32 v4, 0x3f5db3d7, v2
	v_lshl_add_u32 v27, v18, 4, v21
	s_waitcnt lgkmcnt(0)
	; wave barrier
	s_waitcnt lgkmcnt(0)
	ds_write2_b64 v27, v[33:34], v[3:4] offset1:1
	v_fmac_f32_e32 v30, 0xbf5db3d7, v2
	v_fma_f32 v2, -0.5, v13, v5
	v_fma_f32 v3, -0.5, v38, v6
	v_mad_i32_i24 v6, v20, 24, 0
	v_fmac_f32_e32 v29, 0x3f5db3d7, v28
	v_mov_b32_e32 v4, v2
	v_mov_b32_e32 v5, v3
	v_add_u32_e32 v13, v6, v23
	v_fmac_f32_e32 v2, 0x3f5db3d7, v37
	v_fmac_f32_e32 v3, 0xbf5db3d7, v39
	v_fma_f32 v7, -0.5, v40, v7
	v_fmac_f32_e32 v8, -0.5, v42
	ds_write_b64 v27, v[29:30] offset:16
	v_fmac_f32_e32 v4, 0xbf5db3d7, v37
	v_fmac_f32_e32 v5, 0x3f5db3d7, v39
	ds_write_b64 v13, v[2:3] offset:16
	v_mov_b32_e32 v2, v7
	v_mov_b32_e32 v3, v8
	v_mad_i32_i24 v29, v24, 24, 0
	ds_write2_b64 v13, v[9:10], v[4:5] offset1:1
	v_fmac_f32_e32 v2, 0xbf5db3d7, v41
	v_fmac_f32_e32 v3, 0x3f5db3d7, v43
	v_add_u32_e32 v4, v29, v23
	v_fmac_f32_e32 v7, 0x3f5db3d7, v41
	v_fmac_f32_e32 v8, 0xbf5db3d7, v43
	ds_write2_b64 v4, v[11:12], v[2:3] offset1:1
	ds_write_b64 v4, v[7:8] offset:16
	v_add_f32_e32 v3, v25, v31
	v_add_f32_e32 v7, v26, v32
	;; [unrolled: 1-line block ×4, first 2 shown]
	v_fma_f32 v0, -0.5, v3, v0
	v_fmac_f32_e32 v1, -0.5, v7
	v_sub_f32_e32 v4, v26, v32
	v_sub_f32_e32 v8, v25, v31
	v_mov_b32_e32 v27, v0
	v_mov_b32_e32 v28, v1
	v_add_f32_e32 v25, v2, v31
	v_add_f32_e32 v26, v5, v32
	v_fmac_f32_e32 v27, 0xbf5db3d7, v4
	v_fmac_f32_e32 v0, 0x3f5db3d7, v4
	v_fmac_f32_e32 v28, 0x3f5db3d7, v8
	v_fmac_f32_e32 v1, 0xbf5db3d7, v8
	s_and_saveexec_b64 s[4:5], s[0:1]
	s_cbranch_execz .LBB0_14
; %bb.13:
	v_mul_i32_i24_e32 v2, 24, v22
	v_add3_u32 v2, 0, v2, v23
	ds_write2_b64 v2, v[25:26], v[27:28] offset1:1
	ds_write_b64 v2, v[0:1] offset:16
.LBB0_14:
	s_or_b64 exec, exec, s[4:5]
	v_lshlrev_b32_e32 v7, 4, v20
	v_lshlrev_b32_e32 v30, 4, v24
	v_sub_u32_e32 v6, v6, v7
	v_sub_u32_e32 v29, v29, v30
	s_waitcnt lgkmcnt(0)
	; wave barrier
	s_waitcnt lgkmcnt(0)
	ds_read2_b64 v[10:13], v21 offset0:30 offset1:39
	ds_read2_b64 v[2:5], v21 offset0:48 offset1:60
	v_add_u32_e32 v37, v6, v23
	ds_read2_b64 v[6:9], v21 offset0:69 offset1:78
	v_add_u32_e32 v38, v29, v23
	ds_read_b64 v[33:34], v36
	ds_read_b64 v[31:32], v37
	;; [unrolled: 1-line block ×3, first 2 shown]
	v_lshlrev_b32_e32 v39, 3, v22
	s_and_saveexec_b64 s[4:5], s[0:1]
	s_cbranch_execz .LBB0_16
; %bb.15:
	ds_read2_b64 v[40:43], v21 offset0:57 offset1:87
	v_add3_u32 v0, 0, v39, v23
	ds_read_b64 v[25:26], v0
	s_waitcnt lgkmcnt(1)
	v_mov_b32_e32 v1, v43
	v_mov_b32_e32 v0, v42
	;; [unrolled: 1-line block ×4, first 2 shown]
.LBB0_16:
	s_or_b64 exec, exec, s[4:5]
	s_movk_i32 s6, 0xab
	v_mul_lo_u16_sdwa v40, v18, s6 dst_sel:DWORD dst_unused:UNUSED_PAD src0_sel:BYTE_0 src1_sel:DWORD
	v_lshrrev_b16_e32 v49, 9, v40
	v_mul_lo_u16_sdwa v45, v20, s6 dst_sel:DWORD dst_unused:UNUSED_PAD src0_sel:BYTE_0 src1_sel:DWORD
	v_mul_lo_u16_e32 v40, 3, v49
	v_lshrrev_b16_e32 v51, 9, v45
	v_sub_u16_e32 v50, v18, v40
	v_mov_b32_e32 v40, 4
	v_mul_lo_u16_e32 v45, 3, v51
	v_lshlrev_b32_sdwa v41, v40, v50 dst_sel:DWORD dst_unused:UNUSED_PAD src0_sel:DWORD src1_sel:BYTE_0
	v_sub_u16_e32 v52, v20, v45
	global_load_dwordx4 v[41:44], v41, s[12:13]
	v_lshlrev_b32_sdwa v45, v40, v52 dst_sel:DWORD dst_unused:UNUSED_PAD src0_sel:DWORD src1_sel:BYTE_0
	global_load_dwordx4 v[45:48], v45, s[12:13]
	v_mul_lo_u16_sdwa v53, v24, s6 dst_sel:DWORD dst_unused:UNUSED_PAD src0_sel:BYTE_0 src1_sel:DWORD
	v_lshrrev_b16_e32 v53, 9, v53
	v_mul_lo_u16_e32 v54, 3, v53
	v_sub_u16_e32 v54, v24, v54
	s_movk_i32 s4, 0x48
	s_waitcnt vmcnt(1) lgkmcnt(5)
	v_mul_f32_e32 v55, v42, v11
	v_mul_f32_e32 v42, v42, v10
	s_waitcnt lgkmcnt(4)
	v_mul_f32_e32 v56, v44, v5
	v_mul_f32_e32 v44, v44, v4
	v_fmac_f32_e32 v55, v41, v10
	v_fma_f32 v41, v41, v11, -v42
	v_fmac_f32_e32 v56, v43, v4
	v_fma_f32 v4, v43, v5, -v44
	v_lshlrev_b32_sdwa v5, v40, v54 dst_sel:DWORD dst_unused:UNUSED_PAD src0_sel:DWORD src1_sel:BYTE_0
	s_waitcnt vmcnt(0)
	v_mul_f32_e32 v42, v46, v13
	v_mul_f32_e32 v10, v46, v12
	v_fmac_f32_e32 v42, v45, v12
	v_fma_f32 v43, v45, v13, -v10
	global_load_dwordx4 v[10:13], v5, s[12:13]
	s_waitcnt lgkmcnt(3)
	v_mul_f32_e32 v5, v48, v7
	v_mul_f32_e32 v44, v48, v6
	v_fmac_f32_e32 v5, v47, v6
	v_fma_f32 v6, v47, v7, -v44
	v_sub_f32_e32 v46, v43, v6
	s_waitcnt lgkmcnt(1)
	v_add_f32_e32 v47, v32, v43
	v_add_f32_e32 v43, v43, v6
	v_sub_f32_e32 v45, v55, v56
	v_fmac_f32_e32 v32, -0.5, v43
	v_sub_f32_e32 v48, v42, v5
	s_waitcnt lgkmcnt(0)
	; wave barrier
	s_waitcnt lgkmcnt(0)
	v_add_f32_e32 v6, v47, v6
	s_waitcnt vmcnt(0)
	v_mul_f32_e32 v7, v11, v3
	v_mul_f32_e32 v11, v11, v2
	v_mul_f32_e32 v44, v13, v9
	v_mul_f32_e32 v13, v13, v8
	v_fmac_f32_e32 v7, v10, v2
	v_fma_f32 v2, v10, v3, -v11
	v_fmac_f32_e32 v44, v12, v8
	v_fma_f32 v8, v12, v9, -v13
	v_add_f32_e32 v9, v55, v56
	v_add_f32_e32 v3, v33, v55
	;; [unrolled: 1-line block ×3, first 2 shown]
	v_sub_f32_e32 v57, v2, v8
	v_add_f32_e32 v58, v30, v2
	v_add_f32_e32 v2, v2, v8
	v_fma_f32 v33, -0.5, v9, v33
	v_sub_f32_e32 v13, v41, v4
	v_add_f32_e32 v10, v34, v41
	v_fmac_f32_e32 v34, -0.5, v11
	v_fmac_f32_e32 v30, -0.5, v2
	v_mov_b32_e32 v9, v33
	v_mov_b32_e32 v2, 3
	v_add_f32_e32 v41, v42, v5
	v_add_f32_e32 v4, v10, v4
	v_fmac_f32_e32 v33, 0x3f5db3d7, v13
	v_mov_b32_e32 v10, v34
	v_fmac_f32_e32 v9, 0xbf5db3d7, v13
	v_mad_u32_u24 v13, v49, s4, 0
	v_lshlrev_b32_sdwa v43, v2, v50 dst_sel:DWORD dst_unused:UNUSED_PAD src0_sel:DWORD src1_sel:BYTE_0
	v_add_f32_e32 v12, v31, v42
	v_add_f32_e32 v3, v3, v56
	v_fma_f32 v31, -0.5, v41, v31
	v_fmac_f32_e32 v10, 0x3f5db3d7, v45
	v_add3_u32 v13, v13, v43, v23
	v_add_f32_e32 v55, v7, v44
	v_add_f32_e32 v5, v12, v5
	v_fmac_f32_e32 v34, 0xbf5db3d7, v45
	v_mov_b32_e32 v11, v31
	v_mov_b32_e32 v12, v32
	ds_write2_b64 v13, v[3:4], v[9:10] offset1:3
	ds_write_b64 v13, v[33:34] offset:48
	v_mad_u32_u24 v3, v51, s4, 0
	v_lshlrev_b32_sdwa v4, v2, v52 dst_sel:DWORD dst_unused:UNUSED_PAD src0_sel:DWORD src1_sel:BYTE_0
	v_add_f32_e32 v42, v29, v7
	v_fma_f32 v29, -0.5, v55, v29
	v_fmac_f32_e32 v11, 0xbf5db3d7, v46
	v_fmac_f32_e32 v12, 0x3f5db3d7, v48
	v_add3_u32 v3, v3, v4, v23
	v_sub_f32_e32 v59, v7, v44
	v_add_f32_e32 v7, v42, v44
	v_fmac_f32_e32 v31, 0x3f5db3d7, v46
	v_fmac_f32_e32 v32, 0xbf5db3d7, v48
	v_mov_b32_e32 v41, v29
	v_mov_b32_e32 v42, v30
	ds_write2_b64 v3, v[5:6], v[11:12] offset1:3
	ds_write_b64 v3, v[31:32] offset:48
	v_mad_u32_u24 v3, v53, s4, 0
	v_lshlrev_b32_sdwa v4, v2, v54 dst_sel:DWORD dst_unused:UNUSED_PAD src0_sel:DWORD src1_sel:BYTE_0
	v_add_f32_e32 v8, v58, v8
	v_fmac_f32_e32 v41, 0xbf5db3d7, v57
	v_fmac_f32_e32 v42, 0x3f5db3d7, v59
	v_add3_u32 v3, v3, v4, v23
	v_fmac_f32_e32 v29, 0x3f5db3d7, v57
	v_fmac_f32_e32 v30, 0xbf5db3d7, v59
	ds_write2_b64 v3, v[7:8], v[41:42] offset1:3
	ds_write_b64 v3, v[29:30] offset:48
	s_and_saveexec_b64 s[4:5], s[0:1]
	s_cbranch_execz .LBB0_18
; %bb.17:
	v_mul_lo_u16_sdwa v3, v22, s6 dst_sel:DWORD dst_unused:UNUSED_PAD src0_sel:BYTE_0 src1_sel:DWORD
	v_lshrrev_b16_e32 v3, 9, v3
	v_mul_lo_u16_e32 v3, 3, v3
	v_sub_u16_e32 v7, v22, v3
	v_lshlrev_b32_sdwa v3, v40, v7 dst_sel:DWORD dst_unused:UNUSED_PAD src0_sel:DWORD src1_sel:BYTE_0
	global_load_dwordx4 v[3:6], v3, s[12:13]
	v_lshlrev_b32_sdwa v2, v2, v7 dst_sel:DWORD dst_unused:UNUSED_PAD src0_sel:DWORD src1_sel:BYTE_0
	v_add3_u32 v7, 0, v2, v23
	s_waitcnt vmcnt(0)
	v_mul_f32_e32 v2, v27, v4
	v_mul_f32_e32 v8, v0, v6
	;; [unrolled: 1-line block ×4, first 2 shown]
	v_fma_f32 v2, v28, v3, -v2
	v_fma_f32 v8, v1, v5, -v8
	v_fmac_f32_e32 v4, v27, v3
	v_fmac_f32_e32 v6, v0, v5
	v_add_f32_e32 v0, v2, v8
	v_add_f32_e32 v5, v4, v6
	v_sub_f32_e32 v9, v4, v6
	v_add_f32_e32 v3, v26, v2
	v_sub_f32_e32 v10, v2, v8
	v_add_f32_e32 v2, v25, v4
	v_fma_f32 v1, -0.5, v0, v26
	v_fma_f32 v0, -0.5, v5, v25
	v_add_f32_e32 v3, v3, v8
	v_add_f32_e32 v2, v2, v6
	v_mov_b32_e32 v5, v1
	v_fmac_f32_e32 v1, 0x3f5db3d7, v9
	v_mov_b32_e32 v4, v0
	v_fmac_f32_e32 v0, 0xbf5db3d7, v10
	v_fmac_f32_e32 v5, 0xbf5db3d7, v9
	;; [unrolled: 1-line block ×3, first 2 shown]
	ds_write2_b64 v7, v[2:3], v[0:1] offset0:81 offset1:84
	ds_write_b64 v7, v[4:5] offset:696
.LBB0_18:
	s_or_b64 exec, exec, s[4:5]
	v_mul_u32_u24_e32 v0, 9, v18
	v_lshlrev_b32_e32 v29, 3, v0
	s_waitcnt lgkmcnt(0)
	; wave barrier
	s_waitcnt lgkmcnt(0)
	global_load_dwordx4 v[0:3], v29, s[12:13] offset:48
	global_load_dwordx4 v[4:7], v29, s[12:13] offset:64
	;; [unrolled: 1-line block ×4, first 2 shown]
	global_load_dwordx2 v[12:13], v29, s[12:13] offset:112
	v_add3_u32 v23, 0, v39, v23
	ds_read2_b64 v[29:32], v21 offset0:36 offset1:45
	ds_read_b64 v[33:34], v36
	ds_read_b64 v[47:48], v37
	ds_read2_b64 v[39:42], v21 offset0:54 offset1:63
	ds_read_b64 v[37:38], v38
	ds_read2_b64 v[43:46], v21 offset0:72 offset1:81
	ds_read_b64 v[49:50], v23
	s_waitcnt lgkmcnt(0)
	; wave barrier
	s_waitcnt lgkmcnt(0)
	v_cmp_ne_u32_e64 s[0:1], 0, v18
	s_waitcnt vmcnt(4)
	v_mul_f32_e32 v51, v3, v38
	s_waitcnt vmcnt(3)
	v_mul_f32_e32 v53, v7, v30
	;; [unrolled: 2-line block ×3, first 2 shown]
	v_mul_f32_e32 v3, v3, v37
	v_mul_f32_e32 v52, v5, v50
	;; [unrolled: 1-line block ×5, first 2 shown]
	s_waitcnt vmcnt(1)
	v_mul_f32_e32 v57, v44, v28
	v_fmac_f32_e32 v53, v6, v29
	v_fmac_f32_e32 v55, v39, v10
	v_mul_f32_e32 v23, v1, v48
	v_mul_f32_e32 v1, v1, v47
	;; [unrolled: 1-line block ×7, first 2 shown]
	v_fmac_f32_e32 v51, v2, v37
	v_fma_f32 v2, v2, v38, -v3
	v_fmac_f32_e32 v52, v4, v49
	v_fma_f32 v3, v4, v50, -v5
	v_fma_f32 v4, v6, v30, -v7
	;; [unrolled: 1-line block ×3, first 2 shown]
	v_fmac_f32_e32 v57, v43, v27
	v_add_f32_e32 v10, v53, v55
	v_fmac_f32_e32 v23, v0, v47
	v_fma_f32 v47, v0, v48, -v1
	s_waitcnt vmcnt(0)
	v_mul_f32_e32 v0, v46, v13
	v_mul_f32_e32 v1, v45, v13
	v_fmac_f32_e32 v54, v8, v31
	v_fma_f32 v5, v8, v32, -v9
	v_fmac_f32_e32 v56, v41, v25
	v_fma_f32 v7, v42, v25, -v26
	v_fma_f32 v8, v44, v27, -v28
	v_sub_f32_e32 v13, v51, v53
	v_sub_f32_e32 v25, v57, v55
	v_add_f32_e32 v26, v51, v57
	v_sub_f32_e32 v27, v53, v51
	v_sub_f32_e32 v28, v55, v57
	v_fma_f32 v32, -0.5, v10, v33
	v_add_f32_e32 v9, v33, v51
	v_sub_f32_e32 v11, v2, v8
	v_add_f32_e32 v30, v4, v6
	v_add_f32_e32 v10, v13, v25
	v_fma_f32 v13, -0.5, v26, v33
	v_add_f32_e32 v25, v27, v28
	v_mov_b32_e32 v27, v32
	v_fmac_f32_e32 v0, v45, v12
	v_fma_f32 v1, v46, v12, -v1
	v_sub_f32_e32 v12, v4, v6
	v_add_f32_e32 v9, v9, v53
	v_fma_f32 v30, -0.5, v30, v34
	v_fmac_f32_e32 v32, 0x3f737871, v11
	v_mov_b32_e32 v28, v13
	v_fmac_f32_e32 v27, 0xbf737871, v11
	v_add_f32_e32 v29, v34, v2
	v_sub_f32_e32 v31, v51, v57
	v_add_f32_e32 v9, v9, v55
	v_fmac_f32_e32 v13, 0xbf737871, v12
	v_fmac_f32_e32 v32, 0x3f167918, v12
	;; [unrolled: 1-line block ×4, first 2 shown]
	v_mov_b32_e32 v33, v30
	v_add_f32_e32 v26, v29, v4
	v_add_f32_e32 v29, v9, v57
	v_fmac_f32_e32 v13, 0x3f167918, v11
	v_fmac_f32_e32 v32, 0x3e9e377a, v10
	;; [unrolled: 1-line block ×5, first 2 shown]
	v_sub_f32_e32 v9, v53, v55
	v_sub_f32_e32 v10, v2, v4
	;; [unrolled: 1-line block ×3, first 2 shown]
	v_fmac_f32_e32 v30, 0xbf737871, v31
	v_fmac_f32_e32 v33, 0x3f167918, v9
	v_add_f32_e32 v10, v10, v11
	v_fmac_f32_e32 v30, 0xbf167918, v9
	v_fmac_f32_e32 v33, 0x3e9e377a, v10
	;; [unrolled: 1-line block ×3, first 2 shown]
	v_add_f32_e32 v10, v2, v8
	v_fmac_f32_e32 v34, -0.5, v10
	v_mov_b32_e32 v37, v34
	v_fmac_f32_e32 v37, 0xbf737871, v9
	v_sub_f32_e32 v2, v4, v2
	v_sub_f32_e32 v4, v6, v8
	v_fmac_f32_e32 v34, 0x3f737871, v9
	v_fmac_f32_e32 v37, 0x3f167918, v31
	v_add_f32_e32 v2, v2, v4
	v_fmac_f32_e32 v34, 0xbf167918, v31
	v_fmac_f32_e32 v37, 0x3e9e377a, v2
	;; [unrolled: 1-line block ×3, first 2 shown]
	v_add_f32_e32 v2, v23, v52
	v_add_f32_e32 v2, v2, v54
	v_add_f32_e32 v2, v2, v56
	v_add_f32_e32 v10, v2, v0
	v_add_f32_e32 v2, v54, v56
	v_fma_f32 v9, -0.5, v2, v23
	v_add_f32_e32 v26, v26, v6
	v_sub_f32_e32 v2, v3, v1
	v_mov_b32_e32 v11, v9
	v_add_f32_e32 v26, v26, v8
	v_fmac_f32_e32 v11, 0xbf737871, v2
	v_sub_f32_e32 v4, v5, v7
	v_sub_f32_e32 v6, v52, v54
	;; [unrolled: 1-line block ×3, first 2 shown]
	v_fmac_f32_e32 v9, 0x3f737871, v2
	v_fmac_f32_e32 v11, 0xbf167918, v4
	v_add_f32_e32 v6, v6, v8
	v_fmac_f32_e32 v9, 0x3f167918, v4
	v_fmac_f32_e32 v11, 0x3e9e377a, v6
	;; [unrolled: 1-line block ×3, first 2 shown]
	v_add_f32_e32 v6, v52, v0
	v_fmac_f32_e32 v23, -0.5, v6
	v_mov_b32_e32 v12, v23
	v_fmac_f32_e32 v12, 0x3f737871, v4
	v_fmac_f32_e32 v23, 0xbf737871, v4
	;; [unrolled: 1-line block ×4, first 2 shown]
	v_add_f32_e32 v2, v47, v3
	v_add_f32_e32 v2, v2, v5
	;; [unrolled: 1-line block ×5, first 2 shown]
	v_fmac_f32_e32 v13, 0x3e9e377a, v25
	v_fmac_f32_e32 v28, 0x3e9e377a, v25
	v_sub_f32_e32 v6, v54, v52
	v_sub_f32_e32 v8, v56, v0
	v_fma_f32 v25, -0.5, v2, v47
	v_add_f32_e32 v6, v6, v8
	v_sub_f32_e32 v0, v52, v0
	v_mov_b32_e32 v38, v25
	v_fmac_f32_e32 v12, 0x3e9e377a, v6
	v_fmac_f32_e32 v23, 0x3e9e377a, v6
	;; [unrolled: 1-line block ×3, first 2 shown]
	v_sub_f32_e32 v2, v54, v56
	v_sub_f32_e32 v4, v3, v5
	;; [unrolled: 1-line block ×3, first 2 shown]
	v_fmac_f32_e32 v25, 0xbf737871, v0
	v_fmac_f32_e32 v38, 0x3f167918, v2
	v_add_f32_e32 v4, v4, v6
	v_fmac_f32_e32 v25, 0xbf167918, v2
	v_fmac_f32_e32 v38, 0x3e9e377a, v4
	v_fmac_f32_e32 v25, 0x3e9e377a, v4
	v_add_f32_e32 v4, v3, v1
	v_fmac_f32_e32 v47, -0.5, v4
	v_mov_b32_e32 v39, v47
	v_fmac_f32_e32 v39, 0xbf737871, v2
	v_sub_f32_e32 v3, v5, v3
	v_sub_f32_e32 v1, v7, v1
	v_fmac_f32_e32 v47, 0x3f737871, v2
	v_fmac_f32_e32 v39, 0x3f167918, v0
	v_add_f32_e32 v1, v3, v1
	v_fmac_f32_e32 v47, 0xbf167918, v0
	v_fmac_f32_e32 v39, 0x3e9e377a, v1
	;; [unrolled: 1-line block ×3, first 2 shown]
	v_mul_f32_e32 v40, 0xbf167918, v38
	v_mul_f32_e32 v41, 0xbf737871, v39
	;; [unrolled: 1-line block ×6, first 2 shown]
	v_fmac_f32_e32 v40, 0x3f4f1bbd, v11
	v_fmac_f32_e32 v41, 0x3e9e377a, v12
	;; [unrolled: 1-line block ×3, first 2 shown]
	v_mul_f32_e32 v43, 0xbf167918, v25
	v_fmac_f32_e32 v38, 0x3f167918, v11
	v_fmac_f32_e32 v39, 0x3f737871, v12
	;; [unrolled: 1-line block ×3, first 2 shown]
	v_mul_f32_e32 v23, 0xbf4f1bbd, v25
	v_add_f32_e32 v0, v29, v10
	v_add_f32_e32 v2, v27, v40
	;; [unrolled: 1-line block ×3, first 2 shown]
	v_fmac_f32_e32 v43, 0xbf4f1bbd, v9
	v_add_f32_e32 v1, v26, v31
	v_add_f32_e32 v3, v33, v38
	;; [unrolled: 1-line block ×3, first 2 shown]
	v_fmac_f32_e32 v23, 0x3f167918, v9
	v_add_f32_e32 v6, v13, v42
	v_add_f32_e32 v8, v32, v43
	;; [unrolled: 1-line block ×4, first 2 shown]
	v_sub_f32_e32 v10, v29, v10
	v_sub_f32_e32 v12, v27, v40
	;; [unrolled: 1-line block ×10, first 2 shown]
	ds_write2_b64 v21, v[0:1], v[2:3] offset1:9
	ds_write2_b64 v21, v[4:5], v[6:7] offset0:18 offset1:27
	ds_write2_b64 v21, v[8:9], v[10:11] offset0:36 offset1:45
	;; [unrolled: 1-line block ×4, first 2 shown]
	s_waitcnt lgkmcnt(0)
	; wave barrier
	s_waitcnt lgkmcnt(0)
	ds_read_b64 v[4:5], v36
	v_sub_u32_e32 v6, v35, v19
                                        ; implicit-def: $vgpr2
                                        ; implicit-def: $vgpr7
                                        ; implicit-def: $vgpr8
                                        ; implicit-def: $vgpr0_vgpr1
	s_and_saveexec_b64 s[4:5], s[0:1]
	s_xor_b64 s[4:5], exec, s[4:5]
	s_cbranch_execz .LBB0_20
; %bb.19:
	v_mov_b32_e32 v19, 0
	v_lshlrev_b64 v[0:1], 3, v[18:19]
	v_mov_b32_e32 v2, s13
	v_add_co_u32_e64 v0, s[0:1], s12, v0
	v_addc_co_u32_e64 v1, s[0:1], v2, v1, s[0:1]
	global_load_dwordx2 v[0:1], v[0:1], off offset:696
	ds_read_b64 v[2:3], v6 offset:720
	s_waitcnt lgkmcnt(0)
	v_add_f32_e32 v9, v2, v4
	v_sub_f32_e32 v2, v4, v2
	v_add_f32_e32 v7, v3, v5
	v_sub_f32_e32 v3, v5, v3
	v_mul_f32_e32 v2, 0.5, v2
	v_mul_f32_e32 v4, 0.5, v7
	;; [unrolled: 1-line block ×3, first 2 shown]
	s_waitcnt vmcnt(0)
	v_mul_f32_e32 v5, v1, v2
	v_fma_f32 v8, v4, v1, v3
	v_fma_f32 v1, v4, v1, -v3
	v_fma_f32 v7, 0.5, v9, v5
	v_fma_f32 v5, v9, 0.5, -v5
	v_fma_f32 v8, -v0, v2, v8
	v_fma_f32 v3, -v0, v2, v1
	v_fmac_f32_e32 v7, v0, v4
	v_fma_f32 v2, -v0, v4, v5
	v_mov_b32_e32 v0, v18
	v_mov_b32_e32 v1, v19
                                        ; implicit-def: $vgpr4_vgpr5
.LBB0_20:
	s_andn2_saveexec_b64 s[0:1], s[4:5]
	s_cbranch_execz .LBB0_22
; %bb.21:
	ds_read_b32 v3, v35 offset:364
	v_mov_b32_e32 v0, 0
	s_waitcnt lgkmcnt(1)
	v_add_f32_e32 v7, v4, v5
	v_sub_f32_e32 v2, v4, v5
	v_mov_b32_e32 v1, 0
	s_waitcnt lgkmcnt(0)
	v_xor_b32_e32 v3, 0x80000000, v3
	v_mov_b32_e32 v8, 0
	ds_write_b32 v35, v3 offset:364
	v_mov_b32_e32 v3, 0
.LBB0_22:
	s_or_b64 exec, exec, s[0:1]
	v_mov_b32_e32 v21, 0
	s_waitcnt lgkmcnt(0)
	v_lshlrev_b64 v[4:5], 3, v[20:21]
	v_mov_b32_e32 v9, s13
	v_add_co_u32_e64 v4, s[0:1], s12, v4
	v_addc_co_u32_e64 v5, s[0:1], v9, v5, s[0:1]
	global_load_dwordx2 v[4:5], v[4:5], off offset:696
	v_mov_b32_e32 v25, v21
	v_lshlrev_b64 v[9:10], 3, v[24:25]
	v_mov_b32_e32 v11, s13
	v_add_co_u32_e64 v9, s[0:1], s12, v9
	v_addc_co_u32_e64 v10, s[0:1], v11, v10, s[0:1]
	global_load_dwordx2 v[9:10], v[9:10], off offset:696
	v_mov_b32_e32 v23, v21
	v_lshlrev_b64 v[11:12], 3, v[22:23]
	v_mov_b32_e32 v13, s13
	v_add_co_u32_e64 v11, s[0:1], s12, v11
	v_addc_co_u32_e64 v12, s[0:1], v13, v12, s[0:1]
	global_load_dwordx2 v[11:12], v[11:12], off offset:696
	s_add_u32 s0, s12, 0x2b8
	v_lshlrev_b64 v[0:1], 3, v[0:1]
	s_addc_u32 s1, s13, 0
	v_lshl_add_u32 v13, v20, 3, v35
	v_mov_b32_e32 v20, s1
	v_add_co_u32_e64 v0, s[0:1], s0, v0
	ds_write2_b32 v36, v7, v8 offset1:1
	ds_write_b64 v6, v[2:3] offset:720
	v_addc_co_u32_e64 v1, s[0:1], v20, v1, s[0:1]
	ds_read_b64 v[2:3], v13
	ds_read_b64 v[7:8], v6 offset:648
	global_load_dwordx2 v[0:1], v[0:1], off offset:288
	v_lshl_add_u32 v19, v24, 3, v35
	s_waitcnt lgkmcnt(0)
	v_add_f32_e32 v20, v2, v7
	v_sub_f32_e32 v2, v2, v7
	v_add_f32_e32 v23, v3, v8
	v_sub_f32_e32 v3, v3, v8
	v_mul_f32_e32 v2, 0.5, v2
	v_mul_f32_e32 v7, 0.5, v23
	;; [unrolled: 1-line block ×3, first 2 shown]
	s_waitcnt vmcnt(3)
	v_mul_f32_e32 v8, v5, v2
	v_fma_f32 v23, v7, v5, v3
	v_fma_f32 v3, v7, v5, -v3
	v_fma_f32 v5, 0.5, v20, v8
	v_fma_f32 v23, -v4, v2, v23
	v_fma_f32 v8, v20, 0.5, -v8
	v_fmac_f32_e32 v5, v4, v7
	v_fma_f32 v3, -v4, v2, v3
	v_fma_f32 v2, -v4, v7, v8
	ds_write2_b32 v13, v5, v23 offset1:1
	ds_write_b64 v6, v[2:3] offset:648
	ds_read_b64 v[2:3], v19
	ds_read_b64 v[4:5], v6 offset:576
	v_xor_b32_e32 v7, 63, v18
	v_lshl_add_u32 v8, v22, 3, v35
	v_lshl_add_u32 v7, v7, 3, v35
	s_waitcnt lgkmcnt(0)
	v_add_f32_e32 v13, v2, v4
	v_sub_f32_e32 v2, v2, v4
	v_add_f32_e32 v20, v3, v5
	v_sub_f32_e32 v3, v3, v5
	v_mul_f32_e32 v2, 0.5, v2
	v_mul_f32_e32 v4, 0.5, v20
	;; [unrolled: 1-line block ×3, first 2 shown]
	s_waitcnt vmcnt(2)
	v_mul_f32_e32 v5, v10, v2
	v_fma_f32 v20, v4, v10, v3
	v_fma_f32 v3, v4, v10, -v3
	v_fma_f32 v10, 0.5, v13, v5
	v_fma_f32 v20, -v9, v2, v20
	v_fma_f32 v5, v13, 0.5, -v5
	v_fmac_f32_e32 v10, v9, v4
	v_fma_f32 v3, -v9, v2, v3
	v_fma_f32 v2, -v9, v4, v5
	ds_write2_b32 v19, v10, v20 offset1:1
	ds_write_b64 v6, v[2:3] offset:576
	ds_read_b64 v[2:3], v8
	ds_read_b64 v[4:5], v7
	s_waitcnt lgkmcnt(0)
	v_add_f32_e32 v9, v2, v4
	v_sub_f32_e32 v2, v2, v4
	v_add_f32_e32 v10, v3, v5
	v_sub_f32_e32 v3, v3, v5
	v_mul_f32_e32 v2, 0.5, v2
	v_mul_f32_e32 v4, 0.5, v10
	;; [unrolled: 1-line block ×3, first 2 shown]
	s_waitcnt vmcnt(1)
	v_mul_f32_e32 v5, v12, v2
	v_fma_f32 v10, v4, v12, v3
	v_fma_f32 v3, v4, v12, -v3
	v_fma_f32 v12, 0.5, v9, v5
	v_fma_f32 v10, -v11, v2, v10
	v_fma_f32 v5, v9, 0.5, -v5
	v_fmac_f32_e32 v12, v11, v4
	v_fma_f32 v3, -v11, v2, v3
	v_fma_f32 v2, -v11, v4, v5
	ds_write2_b32 v8, v12, v10 offset1:1
	ds_write_b64 v7, v[2:3]
	ds_read_b64 v[2:3], v36 offset:288
	ds_read_b64 v[4:5], v6 offset:432
	s_waitcnt lgkmcnt(0)
	v_add_f32_e32 v7, v2, v4
	v_sub_f32_e32 v2, v2, v4
	v_add_f32_e32 v8, v3, v5
	v_sub_f32_e32 v3, v3, v5
	v_mul_f32_e32 v2, 0.5, v2
	v_mul_f32_e32 v4, 0.5, v8
	;; [unrolled: 1-line block ×3, first 2 shown]
	s_waitcnt vmcnt(0)
	v_mul_f32_e32 v5, v1, v2
	v_fma_f32 v8, v4, v1, v3
	v_fma_f32 v1, v4, v1, -v3
	v_fma_f32 v3, 0.5, v7, v5
	v_fma_f32 v8, -v0, v2, v8
	v_fma_f32 v5, v7, 0.5, -v5
	v_fmac_f32_e32 v3, v0, v4
	v_fma_f32 v1, -v0, v2, v1
	v_fma_f32 v0, -v0, v4, v5
	ds_write2_b32 v36, v3, v8 offset0:72 offset1:73
	ds_write_b64 v6, v[0:1] offset:432
	s_waitcnt lgkmcnt(0)
	; wave barrier
	s_waitcnt lgkmcnt(0)
	s_and_saveexec_b64 s[0:1], vcc
	s_cbranch_execz .LBB0_25
; %bb.23:
	v_mul_lo_u32 v2, s3, v16
	v_mul_lo_u32 v3, s2, v17
	v_mad_u64_u32 v[0:1], s[0:1], s2, v16, 0
	v_mov_b32_e32 v7, s11
	v_mov_b32_e32 v19, v21
	v_add3_u32 v1, v1, v3, v2
	v_lshlrev_b64 v[0:1], 3, v[0:1]
	v_lshl_add_u32 v2, v18, 3, v35
	v_add_co_u32_e32 v8, vcc, s10, v0
	v_addc_co_u32_e32 v7, vcc, v7, v1, vcc
	v_lshlrev_b64 v[0:1], 3, v[14:15]
	ds_read2_b64 v[3:6], v2 offset1:9
	v_add_co_u32_e32 v0, vcc, v8, v0
	v_addc_co_u32_e32 v1, vcc, v7, v1, vcc
	v_lshlrev_b64 v[7:8], 3, v[18:19]
	v_add_u32_e32 v20, 9, v18
	v_add_co_u32_e32 v7, vcc, v0, v7
	v_addc_co_u32_e32 v8, vcc, v1, v8, vcc
	s_waitcnt lgkmcnt(0)
	global_store_dwordx2 v[7:8], v[3:4], off
	v_lshlrev_b64 v[3:4], 3, v[20:21]
	v_add_u32_e32 v20, 18, v18
	v_add_co_u32_e32 v3, vcc, v0, v3
	v_addc_co_u32_e32 v4, vcc, v1, v4, vcc
	global_store_dwordx2 v[3:4], v[5:6], off
	ds_read2_b64 v[3:6], v2 offset0:18 offset1:27
	v_lshlrev_b64 v[7:8], 3, v[20:21]
	v_add_u32_e32 v20, 27, v18
	v_add_co_u32_e32 v7, vcc, v0, v7
	v_addc_co_u32_e32 v8, vcc, v1, v8, vcc
	s_waitcnt lgkmcnt(0)
	global_store_dwordx2 v[7:8], v[3:4], off
	v_lshlrev_b64 v[3:4], 3, v[20:21]
	v_add_u32_e32 v20, 36, v18
	v_add_co_u32_e32 v3, vcc, v0, v3
	v_addc_co_u32_e32 v4, vcc, v1, v4, vcc
	global_store_dwordx2 v[3:4], v[5:6], off
	ds_read2_b64 v[3:6], v2 offset0:36 offset1:45
	v_lshlrev_b64 v[7:8], 3, v[20:21]
	v_add_u32_e32 v20, 45, v18
	v_add_co_u32_e32 v7, vcc, v0, v7
	v_addc_co_u32_e32 v8, vcc, v1, v8, vcc
	s_waitcnt lgkmcnt(0)
	global_store_dwordx2 v[7:8], v[3:4], off
	v_lshlrev_b64 v[3:4], 3, v[20:21]
	v_add_u32_e32 v20, 54, v18
	v_add_co_u32_e32 v3, vcc, v0, v3
	v_addc_co_u32_e32 v4, vcc, v1, v4, vcc
	global_store_dwordx2 v[3:4], v[5:6], off
	ds_read2_b64 v[3:6], v2 offset0:54 offset1:63
	v_lshlrev_b64 v[7:8], 3, v[20:21]
	v_add_u32_e32 v20, 63, v18
	v_add_co_u32_e32 v7, vcc, v0, v7
	v_addc_co_u32_e32 v8, vcc, v1, v8, vcc
	s_waitcnt lgkmcnt(0)
	global_store_dwordx2 v[7:8], v[3:4], off
	v_lshlrev_b64 v[3:4], 3, v[20:21]
	v_add_u32_e32 v20, 0x48, v18
	v_add_co_u32_e32 v3, vcc, v0, v3
	v_addc_co_u32_e32 v4, vcc, v1, v4, vcc
	global_store_dwordx2 v[3:4], v[5:6], off
	ds_read2_b64 v[3:6], v2 offset0:72 offset1:81
	v_lshlrev_b64 v[7:8], 3, v[20:21]
	v_add_u32_e32 v20, 0x51, v18
	v_add_co_u32_e32 v7, vcc, v0, v7
	v_addc_co_u32_e32 v8, vcc, v1, v8, vcc
	s_waitcnt lgkmcnt(0)
	global_store_dwordx2 v[7:8], v[3:4], off
	v_lshlrev_b64 v[3:4], 3, v[20:21]
	v_add_co_u32_e32 v3, vcc, v0, v3
	v_addc_co_u32_e32 v4, vcc, v1, v4, vcc
	v_cmp_eq_u32_e32 vcc, 8, v18
	global_store_dwordx2 v[3:4], v[5:6], off
	s_and_b64 exec, exec, vcc
	s_cbranch_execz .LBB0_25
; %bb.24:
	ds_read_b64 v[2:3], v2 offset:656
	s_waitcnt lgkmcnt(0)
	global_store_dwordx2 v[0:1], v[2:3], off offset:720
.LBB0_25:
	s_endpgm
	.section	.rodata,"a",@progbits
	.p2align	6, 0x0
	.amdhsa_kernel fft_rtc_back_len90_factors_3_3_10_wgs_63_tpt_9_halfLds_sp_op_CI_CI_unitstride_sbrr_R2C_dirReg
		.amdhsa_group_segment_fixed_size 0
		.amdhsa_private_segment_fixed_size 0
		.amdhsa_kernarg_size 104
		.amdhsa_user_sgpr_count 6
		.amdhsa_user_sgpr_private_segment_buffer 1
		.amdhsa_user_sgpr_dispatch_ptr 0
		.amdhsa_user_sgpr_queue_ptr 0
		.amdhsa_user_sgpr_kernarg_segment_ptr 1
		.amdhsa_user_sgpr_dispatch_id 0
		.amdhsa_user_sgpr_flat_scratch_init 0
		.amdhsa_user_sgpr_private_segment_size 0
		.amdhsa_uses_dynamic_stack 0
		.amdhsa_system_sgpr_private_segment_wavefront_offset 0
		.amdhsa_system_sgpr_workgroup_id_x 1
		.amdhsa_system_sgpr_workgroup_id_y 0
		.amdhsa_system_sgpr_workgroup_id_z 0
		.amdhsa_system_sgpr_workgroup_info 0
		.amdhsa_system_vgpr_workitem_id 0
		.amdhsa_next_free_vgpr 60
		.amdhsa_next_free_sgpr 28
		.amdhsa_reserve_vcc 1
		.amdhsa_reserve_flat_scratch 0
		.amdhsa_float_round_mode_32 0
		.amdhsa_float_round_mode_16_64 0
		.amdhsa_float_denorm_mode_32 3
		.amdhsa_float_denorm_mode_16_64 3
		.amdhsa_dx10_clamp 1
		.amdhsa_ieee_mode 1
		.amdhsa_fp16_overflow 0
		.amdhsa_exception_fp_ieee_invalid_op 0
		.amdhsa_exception_fp_denorm_src 0
		.amdhsa_exception_fp_ieee_div_zero 0
		.amdhsa_exception_fp_ieee_overflow 0
		.amdhsa_exception_fp_ieee_underflow 0
		.amdhsa_exception_fp_ieee_inexact 0
		.amdhsa_exception_int_div_zero 0
	.end_amdhsa_kernel
	.text
.Lfunc_end0:
	.size	fft_rtc_back_len90_factors_3_3_10_wgs_63_tpt_9_halfLds_sp_op_CI_CI_unitstride_sbrr_R2C_dirReg, .Lfunc_end0-fft_rtc_back_len90_factors_3_3_10_wgs_63_tpt_9_halfLds_sp_op_CI_CI_unitstride_sbrr_R2C_dirReg
                                        ; -- End function
	.section	.AMDGPU.csdata,"",@progbits
; Kernel info:
; codeLenInByte = 5900
; NumSgprs: 32
; NumVgprs: 60
; ScratchSize: 0
; MemoryBound: 0
; FloatMode: 240
; IeeeMode: 1
; LDSByteSize: 0 bytes/workgroup (compile time only)
; SGPRBlocks: 3
; VGPRBlocks: 14
; NumSGPRsForWavesPerEU: 32
; NumVGPRsForWavesPerEU: 60
; Occupancy: 4
; WaveLimiterHint : 1
; COMPUTE_PGM_RSRC2:SCRATCH_EN: 0
; COMPUTE_PGM_RSRC2:USER_SGPR: 6
; COMPUTE_PGM_RSRC2:TRAP_HANDLER: 0
; COMPUTE_PGM_RSRC2:TGID_X_EN: 1
; COMPUTE_PGM_RSRC2:TGID_Y_EN: 0
; COMPUTE_PGM_RSRC2:TGID_Z_EN: 0
; COMPUTE_PGM_RSRC2:TIDIG_COMP_CNT: 0
	.type	__hip_cuid_3a5010f58f414c2b,@object ; @__hip_cuid_3a5010f58f414c2b
	.section	.bss,"aw",@nobits
	.globl	__hip_cuid_3a5010f58f414c2b
__hip_cuid_3a5010f58f414c2b:
	.byte	0                               ; 0x0
	.size	__hip_cuid_3a5010f58f414c2b, 1

	.ident	"AMD clang version 19.0.0git (https://github.com/RadeonOpenCompute/llvm-project roc-6.4.0 25133 c7fe45cf4b819c5991fe208aaa96edf142730f1d)"
	.section	".note.GNU-stack","",@progbits
	.addrsig
	.addrsig_sym __hip_cuid_3a5010f58f414c2b
	.amdgpu_metadata
---
amdhsa.kernels:
  - .args:
      - .actual_access:  read_only
        .address_space:  global
        .offset:         0
        .size:           8
        .value_kind:     global_buffer
      - .offset:         8
        .size:           8
        .value_kind:     by_value
      - .actual_access:  read_only
        .address_space:  global
        .offset:         16
        .size:           8
        .value_kind:     global_buffer
      - .actual_access:  read_only
        .address_space:  global
        .offset:         24
        .size:           8
        .value_kind:     global_buffer
      - .actual_access:  read_only
        .address_space:  global
        .offset:         32
        .size:           8
        .value_kind:     global_buffer
      - .offset:         40
        .size:           8
        .value_kind:     by_value
      - .actual_access:  read_only
        .address_space:  global
        .offset:         48
        .size:           8
        .value_kind:     global_buffer
      - .actual_access:  read_only
        .address_space:  global
        .offset:         56
        .size:           8
        .value_kind:     global_buffer
      - .offset:         64
        .size:           4
        .value_kind:     by_value
      - .actual_access:  read_only
        .address_space:  global
        .offset:         72
        .size:           8
        .value_kind:     global_buffer
      - .actual_access:  read_only
        .address_space:  global
        .offset:         80
        .size:           8
        .value_kind:     global_buffer
      - .actual_access:  read_only
        .address_space:  global
        .offset:         88
        .size:           8
        .value_kind:     global_buffer
      - .actual_access:  write_only
        .address_space:  global
        .offset:         96
        .size:           8
        .value_kind:     global_buffer
    .group_segment_fixed_size: 0
    .kernarg_segment_align: 8
    .kernarg_segment_size: 104
    .language:       OpenCL C
    .language_version:
      - 2
      - 0
    .max_flat_workgroup_size: 63
    .name:           fft_rtc_back_len90_factors_3_3_10_wgs_63_tpt_9_halfLds_sp_op_CI_CI_unitstride_sbrr_R2C_dirReg
    .private_segment_fixed_size: 0
    .sgpr_count:     32
    .sgpr_spill_count: 0
    .symbol:         fft_rtc_back_len90_factors_3_3_10_wgs_63_tpt_9_halfLds_sp_op_CI_CI_unitstride_sbrr_R2C_dirReg.kd
    .uniform_work_group_size: 1
    .uses_dynamic_stack: false
    .vgpr_count:     60
    .vgpr_spill_count: 0
    .wavefront_size: 64
amdhsa.target:   amdgcn-amd-amdhsa--gfx906
amdhsa.version:
  - 1
  - 2
...

	.end_amdgpu_metadata
